;; amdgpu-corpus repo=ROCm/rocFFT kind=compiled arch=gfx950 opt=O3
	.text
	.amdgcn_target "amdgcn-amd-amdhsa--gfx950"
	.amdhsa_code_object_version 6
	.protected	fft_rtc_fwd_len630_factors_3_3_5_7_2_wgs_63_tpt_63_halfLds_sp_op_CI_CI_unitstride_sbrr_C2R_dirReg ; -- Begin function fft_rtc_fwd_len630_factors_3_3_5_7_2_wgs_63_tpt_63_halfLds_sp_op_CI_CI_unitstride_sbrr_C2R_dirReg
	.globl	fft_rtc_fwd_len630_factors_3_3_5_7_2_wgs_63_tpt_63_halfLds_sp_op_CI_CI_unitstride_sbrr_C2R_dirReg
	.p2align	8
	.type	fft_rtc_fwd_len630_factors_3_3_5_7_2_wgs_63_tpt_63_halfLds_sp_op_CI_CI_unitstride_sbrr_C2R_dirReg,@function
fft_rtc_fwd_len630_factors_3_3_5_7_2_wgs_63_tpt_63_halfLds_sp_op_CI_CI_unitstride_sbrr_C2R_dirReg: ; @fft_rtc_fwd_len630_factors_3_3_5_7_2_wgs_63_tpt_63_halfLds_sp_op_CI_CI_unitstride_sbrr_C2R_dirReg
; %bb.0:
	s_load_dwordx4 s[4:7], s[0:1], 0x58
	s_load_dwordx4 s[8:11], s[0:1], 0x0
	;; [unrolled: 1-line block ×3, first 2 shown]
	v_mul_u32_u24_e32 v1, 0x411, v0
	v_add_u32_sdwa v6, s2, v1 dst_sel:DWORD dst_unused:UNUSED_PAD src0_sel:DWORD src1_sel:WORD_1
	v_mov_b32_e32 v4, 0
	s_waitcnt lgkmcnt(0)
	v_cmp_lt_u64_e64 s[2:3], s[10:11], 2
	v_mov_b32_e32 v7, v4
	s_and_b64 vcc, exec, s[2:3]
	v_mov_b64_e32 v[2:3], 0
	s_cbranch_vccnz .LBB0_8
; %bb.1:
	s_load_dwordx2 s[2:3], s[0:1], 0x10
	s_add_u32 s16, s14, 8
	s_addc_u32 s17, s15, 0
	s_add_u32 s18, s12, 8
	s_addc_u32 s19, s13, 0
	s_waitcnt lgkmcnt(0)
	s_add_u32 s20, s2, 8
	v_mov_b64_e32 v[2:3], 0
	s_addc_u32 s21, s3, 0
	s_mov_b64 s[22:23], 1
	v_mov_b64_e32 v[24:25], v[2:3]
.LBB0_2:                                ; =>This Inner Loop Header: Depth=1
	s_load_dwordx2 s[24:25], s[20:21], 0x0
                                        ; implicit-def: $vgpr26_vgpr27
	s_waitcnt lgkmcnt(0)
	v_or_b32_e32 v5, s25, v7
	v_cmp_ne_u64_e32 vcc, 0, v[4:5]
	s_and_saveexec_b64 s[2:3], vcc
	s_xor_b64 s[26:27], exec, s[2:3]
	s_cbranch_execz .LBB0_4
; %bb.3:                                ;   in Loop: Header=BB0_2 Depth=1
	v_cvt_f32_u32_e32 v1, s24
	v_cvt_f32_u32_e32 v5, s25
	s_sub_u32 s2, 0, s24
	s_subb_u32 s3, 0, s25
	v_fmac_f32_e32 v1, 0x4f800000, v5
	v_rcp_f32_e32 v1, v1
	s_nop 0
	v_mul_f32_e32 v1, 0x5f7ffffc, v1
	v_mul_f32_e32 v5, 0x2f800000, v1
	v_trunc_f32_e32 v5, v5
	v_fmac_f32_e32 v1, 0xcf800000, v5
	v_cvt_u32_f32_e32 v5, v5
	v_cvt_u32_f32_e32 v1, v1
	v_mul_lo_u32 v8, s2, v5
	v_mul_hi_u32 v10, s2, v1
	v_mul_lo_u32 v9, s3, v1
	v_add_u32_e32 v10, v10, v8
	v_mul_lo_u32 v12, s2, v1
	v_add_u32_e32 v13, v10, v9
	v_mul_hi_u32 v8, v1, v12
	v_mul_hi_u32 v11, v1, v13
	v_mul_lo_u32 v10, v1, v13
	v_mov_b32_e32 v9, v4
	v_lshl_add_u64 v[8:9], v[8:9], 0, v[10:11]
	v_mul_hi_u32 v11, v5, v12
	v_mul_lo_u32 v12, v5, v12
	v_add_co_u32_e32 v8, vcc, v8, v12
	v_mul_hi_u32 v10, v5, v13
	s_nop 0
	v_addc_co_u32_e32 v8, vcc, v9, v11, vcc
	v_mov_b32_e32 v9, v4
	s_nop 0
	v_addc_co_u32_e32 v11, vcc, 0, v10, vcc
	v_mul_lo_u32 v10, v5, v13
	v_lshl_add_u64 v[8:9], v[8:9], 0, v[10:11]
	v_add_co_u32_e32 v1, vcc, v1, v8
	v_mul_lo_u32 v10, s2, v1
	s_nop 0
	v_addc_co_u32_e32 v5, vcc, v5, v9, vcc
	v_mul_lo_u32 v8, s2, v5
	v_mul_hi_u32 v9, s2, v1
	v_add_u32_e32 v8, v9, v8
	v_mul_lo_u32 v9, s3, v1
	v_add_u32_e32 v12, v8, v9
	v_mul_hi_u32 v14, v5, v10
	v_mul_lo_u32 v15, v5, v10
	v_mul_hi_u32 v9, v1, v12
	v_mul_lo_u32 v8, v1, v12
	v_mul_hi_u32 v10, v1, v10
	v_mov_b32_e32 v11, v4
	v_lshl_add_u64 v[8:9], v[10:11], 0, v[8:9]
	v_add_co_u32_e32 v8, vcc, v8, v15
	v_mul_hi_u32 v13, v5, v12
	s_nop 0
	v_addc_co_u32_e32 v8, vcc, v9, v14, vcc
	v_mul_lo_u32 v10, v5, v12
	s_nop 0
	v_addc_co_u32_e32 v11, vcc, 0, v13, vcc
	v_mov_b32_e32 v9, v4
	v_lshl_add_u64 v[8:9], v[8:9], 0, v[10:11]
	v_add_co_u32_e32 v1, vcc, v1, v8
	v_mul_hi_u32 v10, v6, v1
	s_nop 0
	v_addc_co_u32_e32 v5, vcc, v5, v9, vcc
	v_mad_u64_u32 v[8:9], s[2:3], v6, v5, 0
	v_mov_b32_e32 v11, v4
	v_lshl_add_u64 v[8:9], v[10:11], 0, v[8:9]
	v_mad_u64_u32 v[12:13], s[2:3], v7, v1, 0
	v_add_co_u32_e32 v1, vcc, v8, v12
	v_mad_u64_u32 v[10:11], s[2:3], v7, v5, 0
	s_nop 0
	v_addc_co_u32_e32 v8, vcc, v9, v13, vcc
	v_mov_b32_e32 v9, v4
	s_nop 0
	v_addc_co_u32_e32 v11, vcc, 0, v11, vcc
	v_lshl_add_u64 v[8:9], v[8:9], 0, v[10:11]
	v_mul_lo_u32 v1, s25, v8
	v_mul_lo_u32 v5, s24, v9
	v_mad_u64_u32 v[10:11], s[2:3], s24, v8, 0
	v_add3_u32 v1, v11, v5, v1
	v_sub_u32_e32 v5, v7, v1
	v_mov_b32_e32 v11, s25
	v_sub_co_u32_e32 v14, vcc, v6, v10
	v_lshl_add_u64 v[12:13], v[8:9], 0, 1
	s_nop 0
	v_subb_co_u32_e64 v5, s[2:3], v5, v11, vcc
	v_subrev_co_u32_e64 v10, s[2:3], s24, v14
	v_subb_co_u32_e32 v1, vcc, v7, v1, vcc
	s_nop 0
	v_subbrev_co_u32_e64 v5, s[2:3], 0, v5, s[2:3]
	v_cmp_le_u32_e64 s[2:3], s25, v5
	v_cmp_le_u32_e32 vcc, s25, v1
	s_nop 0
	v_cndmask_b32_e64 v11, 0, -1, s[2:3]
	v_cmp_le_u32_e64 s[2:3], s24, v10
	s_nop 1
	v_cndmask_b32_e64 v10, 0, -1, s[2:3]
	v_cmp_eq_u32_e64 s[2:3], s25, v5
	s_nop 1
	v_cndmask_b32_e64 v5, v11, v10, s[2:3]
	v_lshl_add_u64 v[10:11], v[8:9], 0, 2
	v_cmp_ne_u32_e64 s[2:3], 0, v5
	s_nop 1
	v_cndmask_b32_e64 v5, v13, v11, s[2:3]
	v_cndmask_b32_e64 v11, 0, -1, vcc
	v_cmp_le_u32_e32 vcc, s24, v14
	s_nop 1
	v_cndmask_b32_e64 v13, 0, -1, vcc
	v_cmp_eq_u32_e32 vcc, s25, v1
	s_nop 1
	v_cndmask_b32_e32 v1, v11, v13, vcc
	v_cmp_ne_u32_e32 vcc, 0, v1
	v_cndmask_b32_e64 v1, v12, v10, s[2:3]
	s_nop 0
	v_cndmask_b32_e32 v27, v9, v5, vcc
	v_cndmask_b32_e32 v26, v8, v1, vcc
.LBB0_4:                                ;   in Loop: Header=BB0_2 Depth=1
	s_andn2_saveexec_b64 s[2:3], s[26:27]
	s_cbranch_execz .LBB0_6
; %bb.5:                                ;   in Loop: Header=BB0_2 Depth=1
	v_cvt_f32_u32_e32 v1, s24
	s_sub_i32 s26, 0, s24
	v_mov_b32_e32 v27, v4
	v_rcp_iflag_f32_e32 v1, v1
	s_nop 0
	v_mul_f32_e32 v1, 0x4f7ffffe, v1
	v_cvt_u32_f32_e32 v1, v1
	v_mul_lo_u32 v5, s26, v1
	v_mul_hi_u32 v5, v1, v5
	v_add_u32_e32 v1, v1, v5
	v_mul_hi_u32 v1, v6, v1
	v_mul_lo_u32 v5, v1, s24
	v_sub_u32_e32 v5, v6, v5
	v_add_u32_e32 v8, 1, v1
	v_subrev_u32_e32 v9, s24, v5
	v_cmp_le_u32_e32 vcc, s24, v5
	s_nop 1
	v_cndmask_b32_e32 v5, v5, v9, vcc
	v_cndmask_b32_e32 v1, v1, v8, vcc
	v_add_u32_e32 v8, 1, v1
	v_cmp_le_u32_e32 vcc, s24, v5
	s_nop 1
	v_cndmask_b32_e32 v26, v1, v8, vcc
.LBB0_6:                                ;   in Loop: Header=BB0_2 Depth=1
	s_or_b64 exec, exec, s[2:3]
	v_mad_u64_u32 v[8:9], s[2:3], v26, s24, 0
	s_load_dwordx2 s[2:3], s[18:19], 0x0
	v_mul_lo_u32 v1, v27, s24
	v_mul_lo_u32 v5, v26, s25
	s_load_dwordx2 s[24:25], s[16:17], 0x0
	s_add_u32 s22, s22, 1
	v_add3_u32 v1, v9, v5, v1
	v_sub_co_u32_e32 v5, vcc, v6, v8
	s_addc_u32 s23, s23, 0
	s_nop 0
	v_subb_co_u32_e32 v1, vcc, v7, v1, vcc
	s_add_u32 s16, s16, 8
	s_waitcnt lgkmcnt(0)
	v_mul_lo_u32 v6, s2, v1
	v_mul_lo_u32 v7, s3, v5
	v_mad_u64_u32 v[2:3], s[2:3], s2, v5, v[2:3]
	s_addc_u32 s17, s17, 0
	v_add3_u32 v3, v7, v3, v6
	v_mul_lo_u32 v1, s24, v1
	v_mul_lo_u32 v6, s25, v5
	v_mad_u64_u32 v[24:25], s[2:3], s24, v5, v[24:25]
	s_add_u32 s18, s18, 8
	v_add3_u32 v25, v6, v25, v1
	s_addc_u32 s19, s19, 0
	v_mov_b64_e32 v[6:7], s[10:11]
	s_add_u32 s20, s20, 8
	v_cmp_ge_u64_e32 vcc, s[22:23], v[6:7]
	s_addc_u32 s21, s21, 0
	s_cbranch_vccnz .LBB0_9
; %bb.7:                                ;   in Loop: Header=BB0_2 Depth=1
	v_mov_b64_e32 v[6:7], v[26:27]
	s_branch .LBB0_2
.LBB0_8:
	v_mov_b64_e32 v[24:25], v[2:3]
	v_mov_b64_e32 v[26:27], v[6:7]
.LBB0_9:
	s_load_dwordx2 s[2:3], s[0:1], 0x28
	s_lshl_b64 s[16:17], s[10:11], 3
	s_add_u32 s10, s14, s16
	s_addc_u32 s11, s15, s17
                                        ; implicit-def: $vgpr28
                                        ; implicit-def: $vgpr30_vgpr31
	s_waitcnt lgkmcnt(0)
	v_cmp_gt_u64_e64 s[0:1], s[2:3], v[26:27]
	v_cmp_le_u64_e32 vcc, s[2:3], v[26:27]
	s_and_saveexec_b64 s[2:3], vcc
	s_xor_b64 s[2:3], exec, s[2:3]
; %bb.10:
	s_mov_b32 s14, 0x4104105
	v_mul_hi_u32 v1, v0, s14
	v_mul_u32_u24_e32 v1, 63, v1
	v_sub_u32_e32 v28, v0, v1
	v_mov_b32_e32 v29, 0
	v_mov_b64_e32 v[30:31], v[28:29]
                                        ; implicit-def: $vgpr0
                                        ; implicit-def: $vgpr2_vgpr3
; %bb.11:
	s_or_saveexec_b64 s[2:3], s[2:3]
	s_load_dwordx2 s[10:11], s[10:11], 0x0
	s_xor_b64 exec, exec, s[2:3]
	s_cbranch_execz .LBB0_15
; %bb.12:
	s_add_u32 s12, s12, s16
	s_addc_u32 s13, s13, s17
	s_load_dwordx2 s[12:13], s[12:13], 0x0
	s_mov_b32 s14, 0x4104105
	v_mov_b32_e32 v29, 0
	s_waitcnt lgkmcnt(0)
	v_mul_lo_u32 v1, s13, v26
	v_mul_lo_u32 v6, s12, v27
	v_mad_u64_u32 v[4:5], s[12:13], s12, v26, 0
	v_add3_u32 v5, v5, v6, v1
	v_mul_hi_u32 v1, v0, s14
	v_mul_u32_u24_e32 v1, 63, v1
	v_sub_u32_e32 v28, v0, v1
	v_lshl_add_u64 v[0:1], v[4:5], 3, s[4:5]
	v_lshl_add_u64 v[0:1], v[2:3], 3, v[0:1]
	v_lshlrev_b32_e32 v2, 3, v28
	v_mov_b32_e32 v3, v29
	v_lshl_add_u64 v[4:5], v[0:1], 0, v[2:3]
	v_add_co_u32_e32 v22, vcc, 0x1000, v4
	global_load_dwordx2 v[6:7], v[4:5], off
	global_load_dwordx2 v[8:9], v[4:5], off offset:504
	global_load_dwordx2 v[10:11], v[4:5], off offset:1008
	;; [unrolled: 1-line block ×7, first 2 shown]
	v_addc_co_u32_e32 v23, vcc, 0, v5, vcc
	global_load_dwordx2 v[30:31], v[4:5], off offset:4032
	global_load_dwordx2 v[32:33], v[22:23], off offset:440
	v_add_u32_e32 v2, 0, v2
	v_cmp_eq_u32_e32 vcc, 62, v28
	v_add_u32_e32 v3, 0x400, v2
	v_add_u32_e32 v4, 0x800, v2
	;; [unrolled: 1-line block ×3, first 2 shown]
	s_waitcnt vmcnt(8)
	ds_write2_b64 v2, v[6:7], v[8:9] offset1:63
	s_waitcnt vmcnt(6)
	ds_write2_b64 v2, v[10:11], v[12:13] offset0:126 offset1:189
	s_waitcnt vmcnt(4)
	ds_write2_b64 v3, v[14:15], v[16:17] offset0:124 offset1:187
	;; [unrolled: 2-line block ×4, first 2 shown]
	v_mov_b64_e32 v[30:31], v[28:29]
	s_and_saveexec_b64 s[4:5], vcc
	s_cbranch_execz .LBB0_14
; %bb.13:
	v_add_co_u32_e32 v0, vcc, 0x1000, v0
	v_mov_b32_e32 v28, 62
	s_nop 0
	v_addc_co_u32_e32 v1, vcc, 0, v1, vcc
	global_load_dwordx2 v[0:1], v[0:1], off offset:944
	v_mov_b64_e32 v[30:31], 62
	s_waitcnt vmcnt(0)
	ds_write_b64 v29, v[0:1] offset:5040
.LBB0_14:
	s_or_b64 exec, exec, s[4:5]
.LBB0_15:
	s_or_b64 exec, exec, s[2:3]
	v_lshlrev_b32_e32 v0, 3, v28
	v_add_u32_e32 v42, 0, v0
	s_waitcnt lgkmcnt(0)
	; wave barrier
	s_waitcnt lgkmcnt(0)
	v_sub_u32_e32 v2, 0, v0
	ds_read_b32 v1, v42
	ds_read_b32 v3, v2 offset:5040
	s_add_u32 s2, s8, 0x1398
	s_addc_u32 s3, s9, 0
	v_cmp_ne_u32_e32 vcc, 0, v28
	s_waitcnt lgkmcnt(0)
	v_add_f32_e32 v0, v3, v1
	v_sub_f32_e32 v1, v1, v3
	s_and_saveexec_b64 s[4:5], vcc
	s_xor_b64 s[4:5], exec, s[4:5]
	s_cbranch_execz .LBB0_17
; %bb.16:
	v_lshl_add_u64 v[4:5], v[30:31], 3, s[2:3]
	global_load_dwordx2 v[4:5], v[4:5], off
	ds_read_b32 v3, v2 offset:5044
	ds_read_b32 v9, v42 offset:4
	v_mov_b32_e32 v6, v1
	v_mov_b32_e32 v8, v0
	;; [unrolled: 1-line block ×3, first 2 shown]
	s_waitcnt lgkmcnt(0)
	v_add_f32_e32 v7, v3, v9
	v_sub_f32_e32 v9, v9, v3
	v_mov_b32_e32 v10, v7
	s_waitcnt vmcnt(0)
	v_pk_mul_f32 v[12:13], v[6:7], v[4:5] op_sel:[0,1]
	v_pk_fma_f32 v[6:7], v[6:7], v[4:5], v[8:9] op_sel:[0,1,0]
	v_mov_b32_e32 v1, v13
	v_mov_b32_e32 v13, v9
	v_pk_fma_f32 v[14:15], v[4:5], v[10:11], v[6:7] neg_lo:[1,0,0] neg_hi:[1,0,0]
	v_pk_fma_f32 v[6:7], v[4:5], v[10:11], v[6:7] op_sel_hi:[0,1,1]
	v_pk_add_f32 v[0:1], v[0:1], v[12:13] neg_lo:[0,1] neg_hi:[0,1]
	v_mov_b32_e32 v15, v7
	v_pk_fma_f32 v[0:1], v[4:5], v[10:11], v[0:1] op_sel_hi:[0,1,1]
	ds_write_b64 v2, v[0:1] offset:5040
	v_mov_b64_e32 v[0:1], v[14:15]
.LBB0_17:
	s_andn2_saveexec_b64 s[4:5], s[4:5]
	s_cbranch_execz .LBB0_19
; %bb.18:
	v_mov_b32_e32 v3, 0
	ds_read_b64 v[4:5], v3 offset:2520
	s_mov_b32 s12, 2.0
	s_mov_b32 s13, -2.0
	s_waitcnt lgkmcnt(0)
	v_pk_mul_f32 v[4:5], v[4:5], s[12:13]
	ds_write_b64 v3, v[4:5] offset:2520
.LBB0_19:
	s_or_b64 exec, exec, s[4:5]
	v_mov_b32_e32 v29, 0
	v_lshl_add_u64 v[4:5], v[28:29], 3, s[2:3]
	global_load_dwordx2 v[6:7], v[4:5], off offset:504
	global_load_dwordx2 v[8:9], v[4:5], off offset:1008
	;; [unrolled: 1-line block ×4, first 2 shown]
	ds_write_b64 v42, v[0:1]
	ds_read_b64 v[0:1], v2 offset:4536
	ds_read_b64 v[4:5], v42 offset:504
	s_mov_b32 s2, 0x3f5db3d7
	v_cmp_gt_u32_e32 vcc, 21, v28
	s_waitcnt lgkmcnt(0)
	v_pk_add_f32 v[14:15], v[4:5], v[0:1]
	v_pk_add_f32 v[0:1], v[4:5], v[0:1] neg_lo:[0,1] neg_hi:[0,1]
	v_mov_b32_e32 v4, v15
	v_mov_b32_e32 v5, v0
	;; [unrolled: 1-line block ×3, first 2 shown]
	s_waitcnt vmcnt(3)
	v_pk_mul_f32 v[16:17], v[4:5], v[6:7] op_sel:[0,1]
	s_nop 0
	v_pk_add_f32 v[18:19], v[14:15], v[16:17] op_sel:[0,1] op_sel_hi:[1,0]
	v_mov_b32_e32 v15, v16
	v_mov_b32_e32 v0, v17
	v_pk_fma_f32 v[16:17], v[6:7], v[4:5], v[18:19] neg_lo:[1,0,0] neg_hi:[1,0,0]
	v_pk_fma_f32 v[18:19], v[6:7], v[4:5], v[18:19] op_sel_hi:[0,1,1]
	v_pk_add_f32 v[0:1], v[14:15], v[0:1] neg_lo:[0,1] neg_hi:[0,1]
	v_mov_b32_e32 v17, v19
	v_pk_fma_f32 v[0:1], v[6:7], v[4:5], v[0:1] op_sel_hi:[0,1,1]
	ds_write_b64 v42, v[16:17] offset:504
	ds_write_b64 v2, v[0:1] offset:4536
	ds_read_b64 v[0:1], v2 offset:4032
	ds_read_b64 v[4:5], v42 offset:1008
	s_waitcnt lgkmcnt(0)
	v_pk_add_f32 v[6:7], v[4:5], v[0:1]
	v_pk_add_f32 v[0:1], v[4:5], v[0:1] neg_lo:[0,1] neg_hi:[0,1]
	v_mov_b32_e32 v4, v7
	v_mov_b32_e32 v5, v0
	;; [unrolled: 1-line block ×3, first 2 shown]
	s_waitcnt vmcnt(2)
	v_pk_mul_f32 v[14:15], v[4:5], v[8:9] op_sel:[0,1]
	s_nop 0
	v_pk_add_f32 v[16:17], v[6:7], v[14:15] op_sel:[0,1] op_sel_hi:[1,0]
	v_mov_b32_e32 v7, v14
	v_mov_b32_e32 v0, v15
	v_pk_fma_f32 v[14:15], v[8:9], v[4:5], v[16:17] neg_lo:[1,0,0] neg_hi:[1,0,0]
	v_pk_fma_f32 v[16:17], v[8:9], v[4:5], v[16:17] op_sel_hi:[0,1,1]
	v_pk_add_f32 v[0:1], v[6:7], v[0:1] neg_lo:[0,1] neg_hi:[0,1]
	v_mov_b32_e32 v15, v17
	v_pk_fma_f32 v[0:1], v[8:9], v[4:5], v[0:1] op_sel_hi:[0,1,1]
	ds_write_b64 v42, v[14:15] offset:1008
	ds_write_b64 v2, v[0:1] offset:4032
	ds_read_b64 v[0:1], v2 offset:3528
	ds_read_b64 v[4:5], v42 offset:1512
	v_add_u32_e32 v16, 0x800, v42
	v_add_u32_e32 v17, 0x1000, v42
	s_waitcnt lgkmcnt(0)
	v_pk_add_f32 v[6:7], v[4:5], v[0:1]
	v_pk_add_f32 v[0:1], v[4:5], v[0:1] neg_lo:[0,1] neg_hi:[0,1]
	v_mov_b32_e32 v4, v7
	v_mov_b32_e32 v5, v0
	;; [unrolled: 1-line block ×3, first 2 shown]
	s_waitcnt vmcnt(1)
	v_pk_mul_f32 v[8:9], v[4:5], v[10:11] op_sel:[0,1]
	s_nop 0
	v_pk_add_f32 v[14:15], v[6:7], v[8:9] op_sel:[0,1] op_sel_hi:[1,0]
	v_mov_b32_e32 v7, v8
	v_mov_b32_e32 v0, v9
	v_pk_fma_f32 v[8:9], v[10:11], v[4:5], v[14:15] neg_lo:[1,0,0] neg_hi:[1,0,0]
	v_pk_fma_f32 v[14:15], v[10:11], v[4:5], v[14:15] op_sel_hi:[0,1,1]
	v_pk_add_f32 v[0:1], v[6:7], v[0:1] neg_lo:[0,1] neg_hi:[0,1]
	v_mov_b32_e32 v9, v15
	v_pk_fma_f32 v[0:1], v[10:11], v[4:5], v[0:1] op_sel_hi:[0,1,1]
	ds_write_b64 v42, v[8:9] offset:1512
	ds_write_b64 v2, v[0:1] offset:3528
	ds_read_b64 v[4:5], v2 offset:3024
	ds_read_b64 v[6:7], v42 offset:2016
	v_add_u32_e32 v1, 0x400, v42
	v_lshlrev_b32_e32 v0, 4, v28
	v_add_u32_e32 v0, v42, v0
	v_add_u32_e32 v43, 0xbd0, v0
	s_waitcnt lgkmcnt(0)
	v_pk_add_f32 v[8:9], v[6:7], v[4:5]
	v_pk_add_f32 v[4:5], v[6:7], v[4:5] neg_lo:[0,1] neg_hi:[0,1]
	v_mov_b32_e32 v6, v9
	v_mov_b32_e32 v7, v4
	;; [unrolled: 1-line block ×3, first 2 shown]
	s_waitcnt vmcnt(0)
	v_pk_mul_f32 v[10:11], v[6:7], v[12:13] op_sel:[0,1]
	s_nop 0
	v_pk_add_f32 v[14:15], v[8:9], v[10:11] op_sel:[0,1] op_sel_hi:[1,0]
	v_mov_b32_e32 v9, v10
	v_mov_b32_e32 v4, v11
	v_pk_fma_f32 v[10:11], v[12:13], v[6:7], v[14:15] neg_lo:[1,0,0] neg_hi:[1,0,0]
	v_pk_fma_f32 v[14:15], v[12:13], v[6:7], v[14:15] op_sel_hi:[0,1,1]
	v_pk_add_f32 v[4:5], v[8:9], v[4:5] neg_lo:[0,1] neg_hi:[0,1]
	v_mov_b32_e32 v11, v15
	v_pk_fma_f32 v[4:5], v[12:13], v[6:7], v[4:5] op_sel_hi:[0,1,1]
	ds_write_b64 v42, v[10:11] offset:2016
	ds_write_b64 v2, v[4:5] offset:3024
	s_waitcnt lgkmcnt(0)
	; wave barrier
	s_waitcnt lgkmcnt(0)
	s_waitcnt lgkmcnt(0)
	; wave barrier
	s_waitcnt lgkmcnt(0)
	ds_read2_b64 v[2:5], v42 offset0:126 offset1:189
	ds_read2_b64 v[6:9], v16 offset0:80 offset1:143
	;; [unrolled: 1-line block ×3, first 2 shown]
	ds_read2_b64 v[18:21], v42 offset1:63
	ds_read2_b64 v[32:35], v1 offset0:82 offset1:145
	ds_read2_b64 v[36:39], v16 offset0:164 offset1:227
	s_waitcnt lgkmcnt(4)
	v_pk_add_f32 v[14:15], v[4:5], v[8:9]
	s_waitcnt lgkmcnt(3)
	v_pk_add_f32 v[22:23], v[8:9], v[12:13]
	v_pk_add_f32 v[8:9], v[8:9], v[12:13] neg_lo:[0,1] neg_hi:[0,1]
	s_waitcnt lgkmcnt(1)
	v_pk_add_f32 v[40:41], v[18:19], v[32:33]
	s_waitcnt lgkmcnt(0)
	v_pk_add_f32 v[44:45], v[32:33], v[36:37]
	v_pk_add_f32 v[32:33], v[32:33], v[36:37] neg_lo:[0,1] neg_hi:[0,1]
	v_pk_add_f32 v[46:47], v[20:21], v[34:35]
	v_pk_add_f32 v[48:49], v[34:35], v[38:39]
	v_pk_add_f32 v[34:35], v[34:35], v[38:39] neg_lo:[0,1] neg_hi:[0,1]
	v_pk_fma_f32 v[4:5], v[22:23], 0.5, v[4:5] op_sel_hi:[1,0,1] neg_lo:[1,0,0] neg_hi:[1,0,0]
	v_pk_mul_f32 v[8:9], v[8:9], s[2:3] op_sel_hi:[1,0]
	v_pk_fma_f32 v[18:19], v[44:45], 0.5, v[18:19] op_sel_hi:[1,0,1] neg_lo:[1,0,0] neg_hi:[1,0,0]
	v_pk_mul_f32 v[32:33], v[32:33], s[2:3] op_sel_hi:[1,0]
	v_pk_fma_f32 v[20:21], v[48:49], 0.5, v[20:21] op_sel_hi:[1,0,1] neg_lo:[1,0,0] neg_hi:[1,0,0]
	v_pk_mul_f32 v[34:35], v[34:35], s[2:3] op_sel_hi:[1,0]
	v_pk_add_f32 v[12:13], v[14:15], v[12:13]
	v_pk_add_f32 v[22:23], v[4:5], v[8:9] op_sel:[0,1] op_sel_hi:[1,0]
	v_pk_add_f32 v[14:15], v[4:5], v[8:9] op_sel:[0,1] op_sel_hi:[1,0] neg_lo:[0,1] neg_hi:[0,1]
	v_pk_add_f32 v[4:5], v[18:19], v[32:33] op_sel:[0,1] op_sel_hi:[1,0]
	v_pk_add_f32 v[8:9], v[18:19], v[32:33] op_sel:[0,1] op_sel_hi:[1,0] neg_lo:[0,1] neg_hi:[0,1]
	;; [unrolled: 2-line block ×3, first 2 shown]
	v_pk_add_f32 v[36:37], v[40:41], v[36:37]
	v_mov_b32_e32 v34, v4
	v_mov_b32_e32 v35, v9
	;; [unrolled: 1-line block ×5, first 2 shown]
	s_waitcnt lgkmcnt(0)
	; wave barrier
	v_pk_add_f32 v[38:39], v[46:47], v[38:39]
	ds_write2_b64 v0, v[36:37], v[34:35] offset1:1
	ds_write2_b64 v0, v[38:39], v[4:5] offset0:189 offset1:190
	v_pk_add_f32 v[4:5], v[6:7], v[10:11]
	v_pk_add_f32 v[50:51], v[2:3], v[6:7]
	v_pk_fma_f32 v[2:3], v[4:5], 0.5, v[2:3] op_sel_hi:[1,0,1] neg_lo:[1,0,0] neg_hi:[1,0,0]
	v_pk_add_f32 v[4:5], v[6:7], v[10:11] neg_lo:[0,1] neg_hi:[0,1]
	v_pk_add_f32 v[40:41], v[50:51], v[10:11]
	v_pk_mul_f32 v[4:5], v[4:5], s[2:3] op_sel_hi:[1,0]
	v_mov_b32_e32 v20, v14
	v_pk_add_f32 v[6:7], v[2:3], v[4:5] op_sel:[0,1] op_sel_hi:[1,0]
	v_pk_add_f32 v[2:3], v[2:3], v[4:5] op_sel:[0,1] op_sel_hi:[1,0] neg_lo:[0,1] neg_hi:[0,1]
	v_mov_b32_e32 v21, v23
	v_mov_b32_e32 v33, v19
	;; [unrolled: 1-line block ×5, first 2 shown]
	ds_write2_b64 v0, v[8:9], v[32:33] offset0:2 offset1:191
	ds_write2_b64 v43, v[40:41], v[4:5] offset1:1
	ds_write_b64 v0, v[2:3] offset:3040
	s_and_saveexec_b64 s[2:3], vcc
	s_cbranch_execz .LBB0_21
; %bb.20:
	v_add_u32_e32 v1, 0x11b8, v0
	v_mov_b32_e32 v23, v15
	ds_write2_b64 v1, v[12:13], v[22:23] offset1:1
	ds_write_b64 v0, v[20:21] offset:4552
.LBB0_21:
	s_or_b64 exec, exec, s[2:3]
	s_waitcnt lgkmcnt(0)
	; wave barrier
	s_waitcnt lgkmcnt(0)
	ds_read2_b64 v[8:11], v42 offset1:63
	ds_read2_b64 v[4:7], v42 offset0:126 offset1:210
	ds_read2_b64 v[0:3], v16 offset0:164 offset1:227
	ds_read2_b64 v[16:19], v16 offset0:17 offset1:80
	ds_read_b64 v[32:33], v42 offset:4368
	s_and_saveexec_b64 s[2:3], vcc
	s_cbranch_execz .LBB0_23
; %bb.22:
	v_add_u32_e32 v12, 0x500, v42
	ds_read2_b64 v[12:15], v12 offset0:29 offset1:239
	ds_read_b64 v[20:21], v42 offset:4872
	s_waitcnt lgkmcnt(1)
	v_mov_b32_e32 v22, v14
.LBB0_23:
	s_or_b64 exec, exec, s[2:3]
	s_movk_i32 s2, 0xab
	v_add_u16_e32 v23, 0x7e, v28
	v_mul_lo_u16_sdwa v34, v23, s2 dst_sel:DWORD dst_unused:UNUSED_PAD src0_sel:BYTE_0 src1_sel:DWORD
	v_lshrrev_b16_e32 v41, 9, v34
	v_mul_lo_u16_e32 v34, 3, v41
	v_add_u16_e32 v35, 0xbd, v28
	v_sub_u16_e32 v23, v23, v34
	v_mul_lo_u16_sdwa v34, v35, s2 dst_sel:DWORD dst_unused:UNUSED_PAD src0_sel:BYTE_0 src1_sel:DWORD
	v_lshrrev_b16_e32 v34, 9, v34
	v_mul_lo_u16_e32 v36, 3, v34
	v_mov_b32_e32 v14, 4
	v_sub_u16_e32 v35, v35, v36
	v_add_u16_e32 v43, 63, v28
	v_lshlrev_b32_sdwa v40, v14, v35 dst_sel:DWORD dst_unused:UNUSED_PAD src0_sel:DWORD src1_sel:BYTE_0
	v_lshlrev_b32_sdwa v48, v14, v23 dst_sel:DWORD dst_unused:UNUSED_PAD src0_sel:DWORD src1_sel:BYTE_0
	global_load_dwordx4 v[36:39], v40, s[8:9]
	global_load_dwordx4 v[44:47], v48, s[8:9]
	v_mul_lo_u16_sdwa v40, v43, s2 dst_sel:DWORD dst_unused:UNUSED_PAD src0_sel:BYTE_0 src1_sel:DWORD
	v_mul_lo_u16_sdwa v48, v28, s2 dst_sel:DWORD dst_unused:UNUSED_PAD src0_sel:BYTE_0 src1_sel:DWORD
	v_lshrrev_b16_e32 v56, 9, v40
	v_lshrrev_b16_e32 v58, 9, v48
	v_mul_lo_u16_e32 v40, 3, v56
	v_mul_lo_u16_e32 v48, 3, v58
	v_sub_u16_e32 v57, v43, v40
	v_sub_u16_e32 v59, v28, v48
	v_lshlrev_b32_sdwa v40, v14, v57 dst_sel:DWORD dst_unused:UNUSED_PAD src0_sel:DWORD src1_sel:BYTE_0
	v_lshlrev_b32_sdwa v14, v14, v59 dst_sel:DWORD dst_unused:UNUSED_PAD src0_sel:DWORD src1_sel:BYTE_0
	global_load_dwordx4 v[48:51], v40, s[8:9]
	global_load_dwordx4 v[52:55], v14, s[8:9]
	s_waitcnt lgkmcnt(0)
	v_mov_b32_e32 v40, v21
	v_mov_b32_e32 v21, 3
	;; [unrolled: 1-line block ×3, first 2 shown]
	v_mul_u32_u24_e32 v15, 0x48, v58
	v_mul_u32_u24_e32 v56, 0x48, v56
	;; [unrolled: 1-line block ×3, first 2 shown]
	v_lshlrev_b32_sdwa v57, v21, v57 dst_sel:DWORD dst_unused:UNUSED_PAD src0_sel:DWORD src1_sel:BYTE_0
	v_lshlrev_b32_sdwa v23, v21, v23 dst_sel:DWORD dst_unused:UNUSED_PAD src0_sel:DWORD src1_sel:BYTE_0
	;; [unrolled: 1-line block ×3, first 2 shown]
	v_add3_u32 v71, 0, v56, v57
	v_add3_u32 v72, 0, v41, v23
	;; [unrolled: 1-line block ×3, first 2 shown]
	s_mov_b32 s2, 0x3f5db3d7
	s_waitcnt lgkmcnt(0)
	; wave barrier
	s_waitcnt vmcnt(3)
	v_pk_mul_f32 v[56:57], v[14:15], v[36:37] op_sel_hi:[0,1]
	v_pk_mul_f32 v[40:41], v[40:41], v[38:39] op_sel_hi:[0,1]
	s_waitcnt vmcnt(2)
	v_pk_mul_f32 v[58:59], v[44:45], v[18:19] op_sel:[0,1]
	v_pk_mul_f32 v[60:61], v[46:47], v[32:33] op_sel:[0,1]
	v_pk_fma_f32 v[14:15], v[22:23], v[36:37], v[56:57] op_sel:[0,0,1] op_sel_hi:[1,1,0] neg_lo:[0,0,1] neg_hi:[0,0,1]
	v_pk_fma_f32 v[36:37], v[22:23], v[36:37], v[56:57] op_sel:[0,0,1] op_sel_hi:[0,1,0]
	v_pk_fma_f32 v[22:23], v[20:21], v[38:39], v[40:41] op_sel:[0,0,1] op_sel_hi:[1,1,0] neg_lo:[0,0,1] neg_hi:[0,0,1]
	v_pk_fma_f32 v[38:39], v[20:21], v[38:39], v[40:41] op_sel:[0,0,1] op_sel_hi:[0,1,0]
	;; [unrolled: 2-line block ×4, first 2 shown]
	s_waitcnt vmcnt(1)
	v_pk_mul_f32 v[62:63], v[48:49], v[16:17] op_sel:[0,1]
	v_pk_mul_f32 v[64:65], v[50:51], v[2:3] op_sel:[0,1]
	s_waitcnt vmcnt(0)
	v_pk_mul_f32 v[66:67], v[52:53], v[6:7] op_sel:[0,1]
	v_pk_mul_f32 v[68:69], v[54:55], v[0:1] op_sel:[0,1]
	v_pk_fma_f32 v[44:45], v[48:49], v[16:17], v[62:63] op_sel:[0,0,1] op_sel_hi:[1,1,0] neg_lo:[0,0,1] neg_hi:[0,0,1]
	v_pk_fma_f32 v[16:17], v[48:49], v[16:17], v[62:63] op_sel:[0,0,1] op_sel_hi:[1,0,0]
	v_pk_fma_f32 v[48:49], v[50:51], v[2:3], v[64:65] op_sel:[0,0,1] op_sel_hi:[1,1,0] neg_lo:[0,0,1] neg_hi:[0,0,1]
	v_pk_fma_f32 v[2:3], v[50:51], v[2:3], v[64:65] op_sel:[0,0,1] op_sel_hi:[1,0,0]
	;; [unrolled: 2-line block ×4, first 2 shown]
	v_mov_b32_e32 v15, v37
	v_mov_b32_e32 v23, v39
	v_mov_b32_e32 v49, v3
	v_mov_b32_e32 v53, v1
	v_pk_add_f32 v[0:1], v[14:15], v[22:23]
	v_pk_add_f32 v[2:3], v[14:15], v[22:23] neg_lo:[0,1] neg_hi:[0,1]
	v_mov_b32_e32 v51, v7
	v_pk_fma_f32 v[36:37], v[0:1], 0.5, v[12:13] op_sel_hi:[1,0,1] neg_lo:[1,0,0] neg_hi:[1,0,0]
	v_pk_mul_f32 v[2:3], v[2:3], s[2:3] op_sel_hi:[1,0]
	v_mov_b32_e32 v41, v33
	v_pk_add_f32 v[32:33], v[50:51], v[52:53]
	v_pk_add_f32 v[0:1], v[36:37], v[2:3] op_sel:[0,1] op_sel_hi:[1,0]
	v_pk_add_f32 v[2:3], v[36:37], v[2:3] op_sel:[0,1] op_sel_hi:[1,0] neg_lo:[0,1] neg_hi:[0,1]
	v_pk_add_f32 v[36:37], v[50:51], v[52:53] neg_lo:[0,1] neg_hi:[0,1]
	v_mov_b32_e32 v47, v19
	v_pk_add_f32 v[18:19], v[8:9], v[50:51]
	v_pk_fma_f32 v[8:9], v[32:33], 0.5, v[8:9] op_sel_hi:[1,0,1] neg_lo:[1,0,0] neg_hi:[1,0,0]
	v_pk_mul_f32 v[36:37], v[36:37], s[2:3] op_sel_hi:[1,0]
	v_mov_b32_e32 v45, v17
	v_pk_add_f32 v[38:39], v[8:9], v[36:37] op_sel:[0,1] op_sel_hi:[1,0]
	v_pk_add_f32 v[8:9], v[8:9], v[36:37] op_sel:[0,1] op_sel_hi:[1,0] neg_lo:[0,1] neg_hi:[0,1]
	v_pk_add_f32 v[16:17], v[10:11], v[44:45]
	v_mov_b32_e32 v37, v9
	v_mov_b32_e32 v9, v39
	ds_write_b64 v70, v[8:9] offset:48
	v_pk_add_f32 v[8:9], v[44:45], v[48:49]
	v_pk_add_f32 v[18:19], v[18:19], v[52:53]
	v_pk_fma_f32 v[8:9], v[8:9], 0.5, v[10:11] op_sel_hi:[1,0,1] neg_lo:[1,0,0] neg_hi:[1,0,0]
	v_pk_add_f32 v[10:11], v[44:45], v[48:49] neg_lo:[0,1] neg_hi:[0,1]
	v_mov_b32_e32 v36, v38
	v_pk_mul_f32 v[10:11], v[10:11], s[2:3] op_sel_hi:[1,0]
	ds_write2_b64 v70, v[18:19], v[36:37] offset1:3
	v_pk_add_f32 v[18:19], v[8:9], v[10:11] op_sel:[0,1] op_sel_hi:[1,0]
	v_pk_add_f32 v[8:9], v[8:9], v[10:11] op_sel:[0,1] op_sel_hi:[1,0] neg_lo:[0,1] neg_hi:[0,1]
	v_pk_add_f32 v[6:7], v[4:5], v[46:47]
	v_mov_b32_e32 v11, v9
	v_mov_b32_e32 v9, v19
	ds_write_b64 v71, v[8:9] offset:48
	v_pk_add_f32 v[8:9], v[46:47], v[40:41]
	v_pk_add_f32 v[16:17], v[16:17], v[48:49]
	v_pk_fma_f32 v[4:5], v[8:9], 0.5, v[4:5] op_sel_hi:[1,0,1] neg_lo:[1,0,0] neg_hi:[1,0,0]
	v_pk_add_f32 v[8:9], v[46:47], v[40:41] neg_lo:[0,1] neg_hi:[0,1]
	v_mov_b32_e32 v10, v18
	v_pk_mul_f32 v[8:9], v[8:9], s[2:3] op_sel_hi:[1,0]
	ds_write2_b64 v71, v[16:17], v[10:11] offset1:3
	v_pk_add_f32 v[10:11], v[4:5], v[8:9] op_sel:[0,1] op_sel_hi:[1,0]
	v_pk_add_f32 v[4:5], v[4:5], v[8:9] op_sel:[0,1] op_sel_hi:[1,0] neg_lo:[0,1] neg_hi:[0,1]
	v_pk_add_f32 v[6:7], v[6:7], v[40:41]
	v_mov_b32_e32 v32, v0
	v_mov_b32_e32 v33, v3
	;; [unrolled: 1-line block ×6, first 2 shown]
	ds_write2_b64 v72, v[6:7], v[8:9] offset1:3
	ds_write_b64 v72, v[4:5] offset:48
	s_and_saveexec_b64 s[2:3], vcc
	s_cbranch_execz .LBB0_25
; %bb.24:
	v_mul_u32_u24_e32 v1, 0x48, v34
	v_lshlrev_b32_sdwa v4, v21, v35 dst_sel:DWORD dst_unused:UNUSED_PAD src0_sel:DWORD src1_sel:BYTE_0
	v_add3_u32 v1, 0, v1, v4
	v_pk_add_f32 v[4:5], v[12:13], v[14:15]
	s_nop 0
	v_pk_add_f32 v[4:5], v[4:5], v[22:23]
	ds_write2_b64 v1, v[4:5], v[32:33] offset1:3
	ds_write_b64 v1, v[2:3] offset:48
.LBB0_25:
	s_or_b64 exec, exec, s[2:3]
	v_mov_b32_e32 v1, 57
	v_mul_lo_u16_sdwa v4, v28, v1 dst_sel:DWORD dst_unused:UNUSED_PAD src0_sel:BYTE_0 src1_sel:DWORD
	v_mul_lo_u16_sdwa v1, v43, v1 dst_sel:DWORD dst_unused:UNUSED_PAD src0_sel:BYTE_0 src1_sel:DWORD
	v_lshrrev_b16_e32 v1, 9, v1
	v_lshrrev_b16_e32 v20, 9, v4
	v_mul_lo_u16_e32 v4, 9, v1
	v_mov_b32_e32 v12, 5
	v_sub_u16_e32 v67, v43, v4
	v_lshlrev_b32_sdwa v13, v12, v67 dst_sel:DWORD dst_unused:UNUSED_PAD src0_sel:DWORD src1_sel:BYTE_0
	s_waitcnt lgkmcnt(0)
	; wave barrier
	s_waitcnt lgkmcnt(0)
	global_load_dwordx4 v[4:7], v13, s[8:9] offset:64
	global_load_dwordx4 v[8:11], v13, s[8:9] offset:48
	v_mul_lo_u16_e32 v13, 9, v20
	v_sub_u16_e32 v22, v28, v13
	v_lshlrev_b32_sdwa v23, v12, v22 dst_sel:DWORD dst_unused:UNUSED_PAD src0_sel:DWORD src1_sel:BYTE_0
	global_load_dwordx4 v[12:15], v23, s[8:9] offset:48
	global_load_dwordx4 v[16:19], v23, s[8:9] offset:64
	v_add_u32_e32 v70, 0x400, v42
	ds_read2_b64 v[34:37], v42 offset0:126 offset1:189
	v_add_u32_e32 v71, 0x800, v42
	v_add_u32_e32 v23, 0xc00, v42
	ds_read2_b64 v[38:41], v42 offset1:63
	ds_read2_b64 v[44:47], v70 offset0:124 offset1:187
	ds_read2_b64 v[48:51], v71 offset0:122 offset1:185
	;; [unrolled: 1-line block ×3, first 2 shown]
	v_mul_u32_u24_e32 v20, 0x168, v20
	v_lshlrev_b32_sdwa v22, v21, v22 dst_sel:DWORD dst_unused:UNUSED_PAD src0_sel:DWORD src1_sel:BYTE_0
	v_add3_u32 v72, 0, v20, v22
	s_mov_b32 s2, 0x3e9e377a
	s_mov_b32 s3, 0x3f167918
	;; [unrolled: 1-line block ×4, first 2 shown]
	s_waitcnt lgkmcnt(0)
	; wave barrier
	s_waitcnt lgkmcnt(0)
	v_mul_u32_u24_e32 v1, 0x168, v1
	v_cmp_gt_u32_e32 vcc, 27, v28
	s_waitcnt vmcnt(3)
	v_pk_mul_f32 v[56:57], v[50:51], v[4:5] op_sel:[0,1]
	s_waitcnt vmcnt(2)
	v_pk_mul_f32 v[22:23], v[8:9], v[36:37] op_sel:[0,1]
	v_mov_b32_e32 v20, v11
	v_mov_b32_e32 v66, v7
	s_waitcnt vmcnt(1)
	v_pk_mul_f32 v[58:59], v[12:13], v[34:35] op_sel:[0,1]
	v_pk_mul_f32 v[60:61], v[14:15], v[44:45] op_sel:[0,1]
	s_waitcnt vmcnt(0)
	v_pk_mul_f32 v[62:63], v[16:17], v[48:49] op_sel:[0,1]
	v_pk_mul_f32 v[64:65], v[18:19], v[52:53] op_sel:[0,1]
	v_pk_fma_f32 v[68:69], v[8:9], v[36:37], v[22:23] op_sel:[0,0,1] op_sel_hi:[1,1,0] neg_lo:[0,0,1] neg_hi:[0,0,1]
	v_pk_fma_f32 v[8:9], v[8:9], v[36:37], v[22:23] op_sel:[0,0,1] op_sel_hi:[1,0,0]
	v_pk_fma_f32 v[22:23], v[12:13], v[34:35], v[58:59] op_sel:[0,0,1] op_sel_hi:[1,1,0] neg_lo:[0,0,1] neg_hi:[0,0,1]
	v_pk_fma_f32 v[12:13], v[12:13], v[34:35], v[58:59] op_sel:[0,0,1] op_sel_hi:[1,0,0]
	v_pk_fma_f32 v[34:35], v[14:15], v[44:45], v[60:61] op_sel:[0,0,1] op_sel_hi:[1,1,0] neg_lo:[0,0,1] neg_hi:[0,0,1]
	v_pk_fma_f32 v[14:15], v[14:15], v[44:45], v[60:61] op_sel:[0,0,1] op_sel_hi:[1,0,0]
	v_pk_fma_f32 v[36:37], v[50:51], v[4:5], v[56:57] op_sel:[0,0,1] op_sel_hi:[1,1,0] neg_lo:[0,0,1] neg_hi:[0,0,1]
	v_pk_fma_f32 v[4:5], v[50:51], v[4:5], v[56:57] op_sel:[0,0,1] op_sel_hi:[1,0,0]
	v_pk_fma_f32 v[44:45], v[16:17], v[48:49], v[62:63] op_sel:[0,0,1] op_sel_hi:[1,1,0] neg_lo:[0,0,1] neg_hi:[0,0,1]
	v_pk_fma_f32 v[16:17], v[16:17], v[48:49], v[62:63] op_sel:[0,0,1] op_sel_hi:[1,0,0]
	v_pk_fma_f32 v[48:49], v[18:19], v[52:53], v[64:65] op_sel:[0,0,1] op_sel_hi:[1,1,0] neg_lo:[0,0,1] neg_hi:[0,0,1]
	v_pk_fma_f32 v[18:19], v[18:19], v[52:53], v[64:65] op_sel:[0,0,1] op_sel_hi:[1,0,0]
	v_pk_mul_f32 v[50:51], v[46:47], v[20:21] op_sel_hi:[1,0]
	v_pk_mul_f32 v[52:53], v[54:55], v[66:67] op_sel_hi:[1,0]
	v_pk_fma_f32 v[56:57], v[46:47], v[10:11], v[50:51] op_sel:[0,0,1] op_sel_hi:[1,1,0] neg_lo:[0,0,1] neg_hi:[0,0,1]
	v_pk_fma_f32 v[10:11], v[46:47], v[10:11], v[50:51] op_sel:[0,0,1] op_sel_hi:[1,0,0]
	v_pk_fma_f32 v[46:47], v[54:55], v[6:7], v[52:53] op_sel:[0,0,1] op_sel_hi:[1,1,0] neg_lo:[0,0,1] neg_hi:[0,0,1]
	v_pk_fma_f32 v[6:7], v[54:55], v[6:7], v[52:53] op_sel:[0,0,1] op_sel_hi:[1,0,0]
	v_mov_b32_e32 v12, v68
	v_mov_b32_e32 v51, v36
	;; [unrolled: 1-line block ×11, first 2 shown]
	v_pk_add_f32 v[12:13], v[12:13], v[50:51] neg_lo:[0,1] neg_hi:[0,1]
	v_pk_add_f32 v[4:5], v[6:7], v[4:5] neg_lo:[0,1] neg_hi:[0,1]
	v_pk_add_f32 v[52:53], v[34:35], v[44:45]
	v_pk_add_f32 v[54:55], v[22:23], v[48:49] neg_lo:[0,1] neg_hi:[0,1]
	v_mov_b32_e32 v6, v13
	v_mov_b32_e32 v18, v5
	v_pk_fma_f32 v[52:53], v[52:53], 0.5, v[38:39] op_sel_hi:[1,0,1] neg_lo:[1,0,0] neg_hi:[1,0,0]
	v_pk_mul_f32 v[58:59], v[54:55], s[4:5] op_sel_hi:[1,0]
	v_pk_add_f32 v[60:61], v[34:35], v[44:45] neg_lo:[0,1] neg_hi:[0,1]
	v_pk_add_f32 v[62:63], v[22:23], v[34:35] neg_lo:[0,1] neg_hi:[0,1]
	;; [unrolled: 1-line block ×3, first 2 shown]
	v_mov_b32_e32 v47, v7
	v_pk_add_f32 v[6:7], v[12:13], v[6:7]
	v_pk_add_f32 v[12:13], v[4:5], v[18:19]
	;; [unrolled: 1-line block ×4, first 2 shown]
	v_pk_add_f32 v[64:65], v[52:53], v[58:59] op_sel:[0,1] op_sel_hi:[1,0]
	v_pk_add_f32 v[52:53], v[52:53], v[58:59] op_sel:[0,1] op_sel_hi:[1,0] neg_lo:[0,1] neg_hi:[0,1]
	v_pk_mul_f32 v[58:59], v[60:61], s[12:13] op_sel_hi:[1,0]
	v_pk_add_f32 v[18:19], v[18:19], v[34:35]
	v_pk_add_f32 v[52:53], v[52:53], v[58:59] op_sel:[0,1] op_sel_hi:[1,0] neg_lo:[0,1] neg_hi:[0,1]
	v_pk_add_f32 v[58:59], v[64:65], v[58:59] op_sel:[0,1] op_sel_hi:[1,0]
	v_pk_add_f32 v[18:19], v[18:19], v[44:45]
	v_mov_b32_e32 v64, v58
	v_mov_b32_e32 v65, v53
	v_pk_add_f32 v[18:19], v[18:19], v[48:49]
	v_pk_fma_f32 v[64:65], v[62:63], s[2:3], v[64:65] op_sel_hi:[1,0,1]
	ds_write2_b64 v72, v[18:19], v[64:65] offset1:9
	v_pk_add_f32 v[18:19], v[22:23], v[48:49]
	v_pk_add_f32 v[22:23], v[34:35], v[22:23] neg_lo:[0,1] neg_hi:[0,1]
	v_pk_add_f32 v[34:35], v[44:45], v[48:49] neg_lo:[0,1] neg_hi:[0,1]
	v_mov_b32_e32 v69, v9
	v_pk_fma_f32 v[18:19], v[18:19], 0.5, v[38:39] op_sel_hi:[1,0,1] neg_lo:[1,0,0] neg_hi:[1,0,0]
	v_pk_add_f32 v[22:23], v[22:23], v[34:35]
	v_pk_mul_f32 v[34:35], v[60:61], s[4:5] op_sel_hi:[1,0]
	v_mov_b32_e32 v57, v11
	v_pk_add_f32 v[14:15], v[68:69], v[46:47]
	v_pk_mul_f32 v[38:39], v[54:55], s[12:13] op_sel_hi:[1,0]
	v_pk_add_f32 v[44:45], v[18:19], v[34:35] op_sel:[0,1] op_sel_hi:[1,0] neg_lo:[0,1] neg_hi:[0,1]
	v_pk_add_f32 v[18:19], v[18:19], v[34:35] op_sel:[0,1] op_sel_hi:[1,0]
	v_pk_add_f32 v[10:11], v[56:57], v[36:37] neg_lo:[0,1] neg_hi:[0,1]
	v_pk_fma_f32 v[14:15], v[14:15], 0.5, v[40:41] op_sel_hi:[1,0,1] neg_lo:[1,0,0] neg_hi:[1,0,0]
	v_pk_add_f32 v[18:19], v[18:19], v[38:39] op_sel:[0,1] op_sel_hi:[1,0] neg_lo:[0,1] neg_hi:[0,1]
	v_pk_add_f32 v[34:35], v[44:45], v[38:39] op_sel:[0,1] op_sel_hi:[1,0]
	v_pk_add_f32 v[8:9], v[68:69], v[46:47] neg_lo:[0,1] neg_hi:[0,1]
	v_pk_fma_f32 v[4:5], v[10:11], s[4:5], v[14:15] op_sel:[1,0,0] op_sel_hi:[0,0,1] neg_lo:[1,0,0] neg_hi:[1,0,0]
	v_pk_fma_f32 v[14:15], v[10:11], s[4:5], v[14:15] op_sel:[1,0,0] op_sel_hi:[0,0,1]
	v_mov_b32_e32 v38, v34
	v_mov_b32_e32 v39, v19
	;; [unrolled: 1-line block ×5, first 2 shown]
	v_pk_fma_f32 v[10:11], v[8:9], s[12:13], v[14:15] op_sel:[1,0,0] op_sel_hi:[0,0,1] neg_lo:[1,0,0] neg_hi:[1,0,0]
	v_pk_fma_f32 v[38:39], v[22:23], s[2:3], v[38:39] op_sel_hi:[1,0,1]
	v_pk_fma_f32 v[18:19], v[22:23], s[2:3], v[18:19] op_sel_hi:[1,0,1]
	v_mov_b32_e32 v53, v59
	v_pk_add_f32 v[16:17], v[56:57], v[68:69] neg_lo:[0,1] neg_hi:[0,1]
	v_pk_add_f32 v[50:51], v[36:37], v[46:47] neg_lo:[0,1] neg_hi:[0,1]
	v_pk_fma_f32 v[14:15], v[8:9], s[12:13], v[4:5] op_sel:[1,0,0] op_sel_hi:[0,0,1]
	v_mov_b32_e32 v5, v11
	ds_write2_b64 v72, v[38:39], v[18:19] offset0:18 offset1:27
	v_pk_fma_f32 v[18:19], v[62:63], s[2:3], v[52:53] op_sel_hi:[1,0,1]
	v_lshlrev_b32_sdwa v11, v21, v67 dst_sel:DWORD dst_unused:UNUSED_PAD src0_sel:DWORD src1_sel:BYTE_0
	v_pk_add_f32 v[20:21], v[56:57], v[36:37]
	v_pk_add_f32 v[16:17], v[16:17], v[50:51]
	v_pk_mul_f32 v[50:51], v[6:7], s[2:3]
	v_pk_mul_f32 v[6:7], v[12:13], s[2:3]
	ds_write_b64 v72, v[18:19] offset:288
	v_pk_add_f32 v[18:19], v[40:41], v[68:69]
	v_pk_fma_f32 v[20:21], v[20:21], 0.5, v[40:41] op_sel_hi:[1,0,1] neg_lo:[1,0,0] neg_hi:[1,0,0]
	v_pk_add_f32 v[18:19], v[18:19], v[56:57]
	v_pk_fma_f32 v[22:23], v[8:9], s[4:5], v[20:21] op_sel:[1,0,0] op_sel_hi:[0,0,1]
	v_pk_fma_f32 v[8:9], v[8:9], s[4:5], v[20:21] op_sel:[1,0,0] op_sel_hi:[0,0,1] neg_lo:[1,0,0] neg_hi:[1,0,0]
	v_mov_b32_e32 v20, v51
	v_mov_b32_e32 v21, v7
	v_pk_add_f32 v[18:19], v[18:19], v[36:37]
	v_pk_add_f32 v[34:35], v[22:23], v[20:21]
	v_pk_fma_f32 v[36:37], v[12:13], s[2:3], v[8:9] neg_lo:[1,0,0] neg_hi:[1,0,0]
	v_mov_b32_e32 v51, v6
	v_mov_b32_e32 v35, v37
	v_add3_u32 v1, 0, v1, v11
	v_pk_add_f32 v[18:19], v[18:19], v[46:47]
	v_pk_add_f32 v[6:7], v[50:51], v[34:35]
	v_mov_b32_e32 v11, v15
	ds_write2_b64 v1, v[18:19], v[6:7] offset1:9
	v_pk_fma_f32 v[6:7], v[16:17], s[2:3], v[10:11] op_sel_hi:[1,0,1]
	v_pk_add_f32 v[8:9], v[8:9], v[20:21] neg_lo:[0,1] neg_hi:[0,1]
	v_pk_fma_f32 v[10:11], v[12:13], s[2:3], v[22:23]
	v_mov_b32_e32 v4, v14
	v_mov_b32_e32 v9, v11
	v_pk_fma_f32 v[4:5], v[16:17], s[2:3], v[4:5] op_sel_hi:[1,0,1]
	v_pk_add_f32 v[34:35], v[50:51], v[8:9]
	ds_write2_b64 v1, v[4:5], v[6:7] offset0:18 offset1:27
	ds_write_b64 v1, v[34:35] offset:288
	s_waitcnt lgkmcnt(0)
	; wave barrier
	s_waitcnt lgkmcnt(0)
	ds_read2_b64 v[12:15], v42 offset1:90
	ds_read2_b64 v[16:19], v70 offset0:52 offset1:142
	ds_read2_b64 v[20:23], v71 offset0:104 offset1:194
	ds_read_b64 v[40:41], v42 offset:4320
	v_cmp_lt_u32_e64 s[2:3], 26, v28
                                        ; implicit-def: $vgpr38_vgpr39
                                        ; implicit-def: $vgpr36_vgpr37
	s_and_saveexec_b64 s[4:5], s[2:3]
	s_xor_b64 s[2:3], exec, s[4:5]
; %bb.26:
	v_mov_b32_e32 v36, v35
	v_mov_b32_e32 v37, v2
	v_mov_b64_e32 v[38:39], v[32:33]
; %bb.27:
	s_or_saveexec_b64 s[2:3], s[2:3]
                                        ; implicit-def: $vgpr9
	s_xor_b64 exec, exec, s[2:3]
	s_cbranch_execz .LBB0_29
; %bb.28:
	v_add_u32_e32 v0, 0x400, v42
	ds_read2_b32 v[34:35], v0 offset0:230 offset1:231
	v_add_u32_e32 v0, 0x800, v42
	ds_read2_b64 v[0:3], v0 offset0:77 offset1:167
	v_add_u32_e32 v4, 0x1000, v42
	ds_read2_b64 v[8:11], v4 offset0:1 offset1:91
	ds_read2_b64 v[4:7], v42 offset0:63 offset1:153
	s_waitcnt lgkmcnt(3)
	v_mov_b32_e32 v36, v35
	s_waitcnt lgkmcnt(2)
	v_mov_b32_e32 v37, v2
	;; [unrolled: 2-line block ×3, first 2 shown]
	v_mov_b32_e32 v39, v1
	v_mov_b32_e32 v32, v8
	;; [unrolled: 1-line block ×3, first 2 shown]
.LBB0_29:
	s_or_b64 exec, exec, s[2:3]
	v_subrev_u32_e32 v1, 45, v28
	v_cmp_gt_u32_e64 s[2:3], 45, v28
	v_mov_b32_e32 v45, 0
	v_mov_b32_e32 v65, 0x9d8
	v_cndmask_b32_e64 v1, v1, v28, s[2:3]
	v_mul_i32_i24_e32 v44, 6, v1
	v_lshl_add_u64 v[56:57], v[44:45], 3, s[8:9]
	global_load_dwordx4 v[44:47], v[56:57], off offset:336
	global_load_dwordx4 v[48:51], v[56:57], off offset:352
	;; [unrolled: 1-line block ×3, first 2 shown]
	v_cmp_lt_u32_e64 s[2:3], 44, v28
	s_waitcnt lgkmcnt(2)
	v_mov_b32_e32 v56, v17
	v_mov_b32_e32 v58, v16
	s_waitcnt lgkmcnt(1)
	v_mov_b32_e32 v59, v21
	v_mov_b32_e32 v60, v22
	;; [unrolled: 1-line block ×5, first 2 shown]
	v_cndmask_b32_e64 v65, 0, v65, s[2:3]
	v_lshlrev_b32_e32 v1, 3, v1
	v_mov_b32_e32 v57, v20
	v_mov_b32_e32 v62, v23
	s_waitcnt lgkmcnt(0)
	v_mov_b32_e32 v64, v41
	v_add3_u32 v1, 0, v65, v1
	s_mov_b32 s12, 0x3eae86e6
	s_mov_b32 s13, 0xbf08b237
	;; [unrolled: 1-line block ×10, first 2 shown]
	s_waitcnt lgkmcnt(0)
	; wave barrier
	s_mov_b32 s14, 0x3f5ff5aa
	s_mov_b32 s16, 0x3f3bfb3b
	s_waitcnt vmcnt(2)
	v_mul_f32_e32 v74, v47, v17
	s_waitcnt vmcnt(1)
	v_mul_f32_e32 v17, v48, v19
	v_mul_f32_e32 v19, v49, v18
	;; [unrolled: 1-line block ×3, first 2 shown]
	s_waitcnt vmcnt(0)
	v_mul_f32_e32 v18, v53, v23
	v_pk_mul_f32 v[66:67], v[44:45], v[14:15] op_sel_hi:[1,0]
	v_mov_b32_e32 v69, v50
	v_mov_b32_e32 v50, v47
	;; [unrolled: 1-line block ×4, first 2 shown]
	v_mul_f32_e32 v65, v51, v20
	v_mov_b32_e32 v68, v46
	v_mov_b32_e32 v70, v52
	v_pk_mul_f32 v[72:73], v[54:55], v[40:41] op_sel_hi:[1,0]
	v_fma_f32 v18, v52, v22, -v18
	v_pk_fma_f32 v[22:23], v[44:45], v[8:9], v[66:67] op_sel:[0,0,1] op_sel_hi:[1,1,0]
	v_pk_fma_f32 v[14:15], v[44:45], v[14:15], v[66:67] op_sel:[0,1,1] op_sel_hi:[1,1,0] neg_lo:[1,0,0] neg_hi:[1,0,0]
	v_pk_mul_f32 v[44:45], v[50:51], v[58:59]
	v_pk_mul_f32 v[48:49], v[48:49], v[60:61]
	v_fma_f32 v16, v46, v16, -v74
	v_pk_fma_f32 v[50:51], v[54:55], v[64:65], v[72:73] op_sel:[0,0,1] op_sel_hi:[1,1,0]
	v_pk_fma_f32 v[40:41], v[54:55], v[40:41], v[72:73] op_sel:[0,1,1] op_sel_hi:[1,1,0] neg_lo:[1,0,0] neg_hi:[1,0,0]
	v_pk_fma_f32 v[46:47], v[46:47], v[56:57], v[44:45]
	v_pk_fma_f32 v[44:45], v[68:69], v[56:57], v[44:45] neg_lo:[0,0,1] neg_hi:[0,0,1]
	v_pk_fma_f32 v[52:53], v[52:53], v[62:63], v[48:49]
	v_pk_fma_f32 v[48:49], v[70:71], v[62:63], v[48:49] neg_lo:[0,0,1] neg_hi:[0,0,1]
	v_mov_b32_e32 v23, v15
	v_mov_b32_e32 v51, v41
	;; [unrolled: 1-line block ×6, first 2 shown]
	v_pk_add_f32 v[54:55], v[16:17], v[18:19]
	v_mov_b32_e32 v17, v18
	v_pk_add_f32 v[18:19], v[22:23], v[50:51]
	v_pk_add_f32 v[20:21], v[20:21], v[64:65]
	v_mov_b32_e32 v40, v49
	v_pk_add_f32 v[48:49], v[46:47], v[52:53]
	v_mov_b32_e32 v15, v16
	v_mov_b32_e32 v16, v55
	;; [unrolled: 1-line block ×6, first 2 shown]
	v_pk_add_f32 v[22:23], v[22:23], v[50:51] neg_lo:[0,1] neg_hi:[0,1]
	v_pk_add_f32 v[56:57], v[54:55], v[20:21]
	v_pk_add_f32 v[14:15], v[14:15], v[16:17] neg_lo:[0,1] neg_hi:[0,1]
	v_pk_add_f32 v[40:41], v[40:41], v[44:45]
	v_pk_add_f32 v[46:47], v[46:47], v[52:53] neg_lo:[0,1] neg_hi:[0,1]
	v_mov_b32_e32 v53, v23
	v_mov_b32_e32 v59, v18
	v_mov_b32_e32 v55, v57
	v_mov_b32_e32 v52, v14
	v_mov_b32_e32 v58, v40
	v_mov_b32_e32 v50, v22
	v_mov_b32_e32 v51, v47
	v_pk_add_f32 v[52:53], v[52:53], v[46:47] neg_lo:[0,1] neg_hi:[0,1]
	v_pk_add_f32 v[58:59], v[58:59], v[54:55] neg_lo:[0,1] neg_hi:[0,1]
	v_mov_b32_e32 v21, v57
	v_mov_b32_e32 v60, v40
	;; [unrolled: 1-line block ×3, first 2 shown]
	v_pk_add_f32 v[40:41], v[56:57], v[40:41]
	v_pk_add_f32 v[16:17], v[50:51], v[14:15] neg_lo:[0,1] neg_hi:[0,1]
	v_pk_add_f32 v[50:51], v[46:47], v[14:15]
	v_pk_mul_f32 v[52:53], v[52:53], s[2:3]
	v_pk_add_f32 v[60:61], v[20:21], v[60:61] neg_lo:[0,1] neg_hi:[0,1]
	v_pk_add_f32 v[12:13], v[40:41], v[12:13]
	v_pk_mul_f32 v[56:57], v[58:59], s[18:19]
	v_pk_mul_f32 v[44:45], v[16:17], s[12:13]
	v_pk_add_f32 v[50:51], v[50:51], v[22:23]
	v_pk_mul_f32 v[58:59], v[60:61], s[22:23]
	v_pk_fma_f32 v[40:41], v[40:41], s[20:21], v[12:13] op_sel_hi:[1,0,1]
	v_pk_fma_f32 v[60:61], v[60:61], s[22:23], v[56:57]
	v_pk_fma_f32 v[16:17], v[16:17], s[12:13], v[52:53]
	v_pk_add_f32 v[60:61], v[60:61], v[40:41]
	v_pk_fma_f32 v[16:17], v[50:51], s[4:5], v[16:17] op_sel_hi:[1,0,1]
	v_mov_b32_e32 v47, v15
	v_pk_add_f32 v[62:63], v[60:61], v[16:17]
	v_pk_add_f32 v[16:17], v[60:61], v[16:17] neg_lo:[0,1] neg_hi:[0,1]
	v_mov_b32_e32 v60, v62
	v_mov_b32_e32 v61, v17
	;; [unrolled: 1-line block ×4, first 2 shown]
	ds_write2_b64 v1, v[12:13], v[60:61] offset1:45
	v_pk_add_f32 v[12:13], v[46:47], v[22:23] neg_lo:[0,1] neg_hi:[0,1]
	v_pk_add_f32 v[14:15], v[54:55], v[20:21] neg_lo:[0,1] neg_hi:[0,1]
	v_mov_b32_e32 v18, v58
	v_mov_b32_e32 v19, v57
	;; [unrolled: 1-line block ×6, first 2 shown]
	v_pk_fma_f32 v[18:19], v[14:15], s[16:17], v[18:19] op_sel_hi:[1,0,1] neg_lo:[1,0,1] neg_hi:[1,0,1]
	v_pk_fma_f32 v[20:21], v[12:13], s[14:15], v[20:21] op_sel_hi:[1,0,1] neg_lo:[1,0,1] neg_hi:[1,0,1]
	;; [unrolled: 1-line block ×4, first 2 shown]
	v_pk_add_f32 v[18:19], v[18:19], v[40:41]
	v_pk_fma_f32 v[20:21], v[50:51], s[4:5], v[20:21] op_sel_hi:[1,0,1]
	v_pk_add_f32 v[14:15], v[14:15], v[40:41]
	v_pk_fma_f32 v[12:13], v[50:51], s[4:5], v[12:13] op_sel_hi:[1,0,1]
	v_pk_add_f32 v[22:23], v[18:19], v[20:21]
	v_pk_add_f32 v[18:19], v[18:19], v[20:21] neg_lo:[0,1] neg_hi:[0,1]
	v_pk_add_f32 v[40:41], v[14:15], v[12:13] neg_lo:[0,1] neg_hi:[0,1]
	v_pk_add_f32 v[12:13], v[14:15], v[12:13]
	v_mov_b32_e32 v20, v22
	v_mov_b32_e32 v21, v19
	;; [unrolled: 1-line block ×7, first 2 shown]
	ds_write2_b64 v1, v[20:21], v[14:15] offset0:90 offset1:135
	ds_write2_b64 v1, v[12:13], v[18:19] offset0:180 offset1:225
	ds_write_b64 v1, v[16:17] offset:2160
	s_and_saveexec_b64 s[24:25], vcc
	s_cbranch_execz .LBB0_31
; %bb.30:
	s_movk_i32 s5, 0x6d
	v_mul_lo_u16_sdwa v1, v43, s5 dst_sel:DWORD dst_unused:UNUSED_PAD src0_sel:BYTE_0 src1_sel:DWORD
	v_sub_u16_sdwa v8, v43, v1 dst_sel:DWORD dst_unused:UNUSED_PAD src0_sel:DWORD src1_sel:BYTE_1
	v_lshrrev_b16_e32 v8, 1, v8
	v_and_b32_e32 v8, 0x7f, v8
	v_add_u16_sdwa v1, v8, v1 dst_sel:DWORD dst_unused:UNUSED_PAD src0_sel:DWORD src1_sel:BYTE_1
	v_lshrrev_b16_e32 v1, 5, v1
	v_mul_lo_u16_e32 v1, 45, v1
	v_sub_u16_e32 v1, v43, v1
	v_and_b32_e32 v1, 0xff, v1
	v_mul_u32_u24_e32 v8, 6, v1
	v_lshlrev_b32_e32 v8, 3, v8
	global_load_dwordx4 v[12:15], v8, s[8:9] offset:336
	global_load_dwordx4 v[16:19], v8, s[8:9] offset:368
	;; [unrolled: 1-line block ×3, first 2 shown]
	v_lshl_add_u32 v43, v1, 3, 0
	v_mov_b32_e32 v44, v34
	v_mov_b32_e32 v45, v3
	;; [unrolled: 1-line block ×5, first 2 shown]
	v_add_u32_e32 v47, 0x800, v43
	v_mov_b32_e32 v8, v9
	v_mov_b32_e32 v40, v9
	;; [unrolled: 1-line block ×3, first 2 shown]
	s_waitcnt vmcnt(2)
	v_pk_mul_f32 v[6:7], v[6:7], v[12:13] op_sel_hi:[0,1]
	s_waitcnt vmcnt(1)
	v_pk_mul_f32 v[10:11], v[10:11], v[18:19] op_sel_hi:[0,1]
	v_mov_b32_e32 v54, v15
	s_waitcnt vmcnt(0)
	v_mov_b32_e32 v55, v23
	v_mov_b32_e32 v58, v17
	;; [unrolled: 1-line block ×3, first 2 shown]
	v_mul_f32_e32 v49, v9, v17
	v_mov_b32_e32 v52, v14
	v_mov_b32_e32 v53, v22
	;; [unrolled: 1-line block ×4, first 2 shown]
	v_mul_f32_e32 v35, v35, v15
	v_mul_f32_e32 v1, v0, v21
	;; [unrolled: 1-line block ×5, first 2 shown]
	v_pk_mul_f32 v[22:23], v[44:45], v[54:55]
	v_pk_mul_f32 v[38:39], v[38:39], v[58:59]
	v_fma_f32 v0, v32, v16, -v49
	v_pk_fma_f32 v[32:33], v[48:49], v[18:19], v[10:11] op_sel:[0,0,1] op_sel_hi:[0,1,0]
	v_pk_fma_f32 v[10:11], v[48:49], v[18:19], v[10:11] op_sel:[0,0,1] op_sel_hi:[0,1,0] neg_lo:[1,0,0] neg_hi:[1,0,0]
	v_pk_fma_f32 v[18:19], v[46:47], v[12:13], v[6:7] op_sel:[0,0,1] op_sel_hi:[1,1,0]
	v_pk_fma_f32 v[6:7], v[50:51], v[12:13], v[6:7] op_sel:[0,0,1] op_sel_hi:[0,1,0] neg_lo:[1,0,0] neg_hi:[1,0,0]
	v_fma_f32 v20, v34, v14, -v35
	v_pk_fma_f32 v[16:17], v[8:9], v[16:17], v[38:39]
	v_pk_fma_f32 v[34:35], v[40:41], v[56:57], v[38:39] neg_lo:[0,0,1] neg_hi:[0,0,1]
	v_pk_fma_f32 v[14:15], v[36:37], v[14:15], v[22:23]
	v_pk_fma_f32 v[22:23], v[36:37], v[52:53], v[22:23] neg_lo:[0,0,1] neg_hi:[0,0,1]
	v_mov_b32_e32 v2, v7
	v_mov_b32_e32 v8, v11
	v_pk_add_f32 v[12:13], v[20:21], v[0:1]
	v_mov_b32_e32 v33, v11
	v_mov_b32_e32 v19, v7
	v_mov_b32_e32 v17, v35
	v_mov_b32_e32 v15, v23
	v_pk_add_f32 v[2:3], v[2:3], v[8:9]
	v_mov_b32_e32 v1, v20
	v_mov_b32_e32 v7, v0
	v_pk_add_f32 v[10:11], v[18:19], v[32:33]
	v_mov_b32_e32 v6, v13
	v_mov_b32_e32 v20, v23
	v_pk_add_f32 v[22:23], v[14:15], v[16:17]
	v_mov_b32_e32 v0, v3
	v_pk_add_f32 v[18:19], v[18:19], v[32:33] neg_lo:[0,1] neg_hi:[0,1]
	v_mov_b32_e32 v8, v35
	v_mov_b32_e32 v21, v10
	v_pk_add_f32 v[0:1], v[0:1], v[6:7] neg_lo:[0,1] neg_hi:[0,1]
	v_mov_b32_e32 v9, v22
	v_pk_add_f32 v[14:15], v[14:15], v[16:17] neg_lo:[0,1] neg_hi:[0,1]
	v_mov_b32_e32 v17, v19
	v_pk_add_f32 v[34:35], v[12:13], v[2:3]
	v_mov_b32_e32 v16, v0
	v_pk_add_f32 v[8:9], v[8:9], v[20:21]
	v_mov_b32_e32 v32, v18
	v_mov_b32_e32 v33, v15
	v_mov_b32_e32 v3, v35
	v_mov_b32_e32 v13, v35
	v_pk_add_f32 v[16:17], v[16:17], v[14:15] neg_lo:[0,1] neg_hi:[0,1]
	v_pk_add_f32 v[34:35], v[34:35], v[8:9]
	v_mov_b32_e32 v9, v22
	v_pk_add_f32 v[6:7], v[14:15], v[0:1]
	v_pk_add_f32 v[32:33], v[32:33], v[0:1] neg_lo:[0,1] neg_hi:[0,1]
	v_mov_b32_e32 v15, v1
	v_pk_mul_f32 v[0:1], v[16:17], s[2:3]
	v_pk_add_f32 v[16:17], v[2:3], v[8:9] neg_lo:[0,1] neg_hi:[0,1]
	v_mov_b32_e32 v9, v10
	v_pk_add_f32 v[8:9], v[8:9], v[12:13] neg_lo:[0,1] neg_hi:[0,1]
	v_pk_add_f32 v[4:5], v[4:5], v[34:35]
	v_pk_mul_f32 v[8:9], v[8:9], s[18:19]
	v_pk_add_f32 v[6:7], v[6:7], v[18:19]
	v_pk_mul_f32 v[20:21], v[32:33], s[12:13]
	v_pk_add_f32 v[14:15], v[14:15], v[18:19] neg_lo:[0,1] neg_hi:[0,1]
	v_pk_mul_f32 v[18:19], v[16:17], s[22:23]
	v_pk_fma_f32 v[34:35], v[34:35], s[20:21], v[4:5] op_sel_hi:[1,0,1]
	v_pk_fma_f32 v[32:33], v[32:33], s[12:13], v[0:1]
	v_pk_fma_f32 v[16:17], v[16:17], s[22:23], v[8:9]
	v_pk_fma_f32 v[32:33], v[6:7], s[4:5], v[32:33] op_sel_hi:[1,0,1]
	v_pk_add_f32 v[16:17], v[16:17], v[34:35]
	v_mov_b32_e32 v13, v22
	v_pk_add_f32 v[36:37], v[16:17], v[32:33]
	v_pk_add_f32 v[16:17], v[16:17], v[32:33] neg_lo:[0,1] neg_hi:[0,1]
	v_mov_b32_e32 v32, v36
	v_mov_b32_e32 v33, v17
	;; [unrolled: 1-line block ×3, first 2 shown]
	ds_write2_b64 v47, v[4:5], v[32:33] offset0:59 offset1:104
	v_mov_b32_e32 v4, v18
	v_mov_b32_e32 v5, v9
	v_pk_add_f32 v[2:3], v[12:13], v[2:3] neg_lo:[0,1] neg_hi:[0,1]
	v_mov_b32_e32 v10, v20
	v_mov_b32_e32 v11, v1
	;; [unrolled: 1-line block ×4, first 2 shown]
	v_pk_fma_f32 v[4:5], v[2:3], s[16:17], v[4:5] op_sel_hi:[1,0,1] neg_lo:[1,0,1] neg_hi:[1,0,1]
	v_pk_fma_f32 v[10:11], v[14:15], s[14:15], v[10:11] op_sel_hi:[1,0,1] neg_lo:[1,0,1] neg_hi:[1,0,1]
	;; [unrolled: 1-line block ×4, first 2 shown]
	v_pk_add_f32 v[4:5], v[4:5], v[34:35]
	v_pk_fma_f32 v[10:11], v[6:7], s[4:5], v[10:11] op_sel_hi:[1,0,1]
	v_pk_fma_f32 v[0:1], v[6:7], s[4:5], v[0:1] op_sel_hi:[1,0,1]
	v_pk_add_f32 v[2:3], v[2:3], v[34:35]
	v_pk_add_f32 v[12:13], v[4:5], v[10:11]
	v_pk_add_f32 v[4:5], v[4:5], v[10:11] neg_lo:[0,1] neg_hi:[0,1]
	v_pk_add_f32 v[6:7], v[2:3], v[0:1] neg_lo:[0,1] neg_hi:[0,1]
	v_pk_add_f32 v[0:1], v[2:3], v[0:1]
	v_mov_b32_e32 v10, v12
	v_mov_b32_e32 v11, v5
	;; [unrolled: 1-line block ×4, first 2 shown]
	ds_write2_b64 v47, v[10:11], v[2:3] offset0:149 offset1:194
	v_mov_b32_e32 v1, v7
	v_mov_b32_e32 v5, v13
	v_add_u32_e32 v2, 0xc00, v43
	v_mov_b32_e32 v17, v37
	ds_write2_b64 v2, v[0:1], v[4:5] offset0:111 offset1:156
	ds_write_b64 v43, v[16:17] offset:4680
.LBB0_31:
	s_or_b64 exec, exec, s[24:25]
	v_lshl_add_u64 v[0:1], v[30:31], 3, s[8:9]
	v_lshl_add_u64 v[2:3], v[28:29], 3, s[8:9]
	s_movk_i32 s2, 0x1000
	s_waitcnt lgkmcnt(0)
	; wave barrier
	s_waitcnt lgkmcnt(0)
	global_load_dwordx2 v[20:21], v[0:1], off offset:2496
	global_load_dwordx2 v[22:23], v[2:3], off offset:3000
	global_load_dwordx2 v[30:31], v[2:3], off offset:3504
	global_load_dwordx2 v[32:33], v[2:3], off offset:4008
	v_add_co_u32_e32 v0, vcc, s2, v2
	v_add_u32_e32 v29, 0x400, v42
	s_nop 0
	v_addc_co_u32_e32 v1, vcc, 0, v3, vcc
	global_load_dwordx2 v[34:35], v[0:1], off offset:416
	ds_read2_b64 v[0:3], v42 offset1:63
	v_add_u32_e32 v43, 0x800, v42
	ds_read2_b64 v[4:7], v42 offset0:126 offset1:189
	v_add_u32_e32 v48, 0xc00, v42
	ds_read2_b64 v[8:11], v29 offset0:124 offset1:187
	ds_read2_b64 v[12:15], v43 offset0:122 offset1:185
	;; [unrolled: 1-line block ×3, first 2 shown]
	s_waitcnt lgkmcnt(0)
	; wave barrier
	s_waitcnt vmcnt(4) lgkmcnt(0)
	v_pk_mul_f32 v[36:37], v[20:21], v[10:11] op_sel:[0,1]
	s_waitcnt vmcnt(3)
	v_pk_mul_f32 v[38:39], v[22:23], v[12:13] op_sel:[0,1]
	s_waitcnt vmcnt(2)
	;; [unrolled: 2-line block ×3, first 2 shown]
	v_pk_mul_f32 v[44:45], v[32:33], v[16:17] op_sel:[0,1]
	v_pk_fma_f32 v[46:47], v[20:21], v[10:11], v[36:37] op_sel:[0,0,1] op_sel_hi:[1,1,0] neg_lo:[0,0,1] neg_hi:[0,0,1]
	v_pk_fma_f32 v[10:11], v[20:21], v[10:11], v[36:37] op_sel:[0,0,1] op_sel_hi:[1,0,0]
	v_pk_fma_f32 v[20:21], v[22:23], v[12:13], v[38:39] op_sel:[0,0,1] op_sel_hi:[1,1,0] neg_lo:[0,0,1] neg_hi:[0,0,1]
	v_pk_fma_f32 v[12:13], v[22:23], v[12:13], v[38:39] op_sel:[0,0,1] op_sel_hi:[1,0,0]
	;; [unrolled: 2-line block ×4, first 2 shown]
	s_waitcnt vmcnt(0)
	v_pk_mul_f32 v[32:33], v[34:35], v[18:19] op_sel:[0,1]
	v_mov_b32_e32 v47, v11
	v_mov_b32_e32 v21, v13
	v_pk_fma_f32 v[10:11], v[34:35], v[18:19], v[32:33] op_sel:[0,0,1] op_sel_hi:[1,1,0] neg_lo:[0,0,1] neg_hi:[0,0,1]
	v_pk_fma_f32 v[12:13], v[34:35], v[18:19], v[32:33] op_sel:[0,0,1] op_sel_hi:[1,0,0]
	v_mov_b32_e32 v23, v15
	v_mov_b32_e32 v31, v17
	v_pk_add_f32 v[14:15], v[0:1], v[46:47] neg_lo:[0,1] neg_hi:[0,1]
	v_pk_add_f32 v[16:17], v[2:3], v[20:21] neg_lo:[0,1] neg_hi:[0,1]
	v_mov_b32_e32 v11, v13
	v_pk_add_f32 v[18:19], v[4:5], v[22:23] neg_lo:[0,1] neg_hi:[0,1]
	v_pk_add_f32 v[20:21], v[6:7], v[30:31] neg_lo:[0,1] neg_hi:[0,1]
	v_pk_fma_f32 v[0:1], v[0:1], 2.0, v[14:15] op_sel_hi:[1,0,1] neg_lo:[0,0,1] neg_hi:[0,0,1]
	v_pk_fma_f32 v[2:3], v[2:3], 2.0, v[16:17] op_sel_hi:[1,0,1] neg_lo:[0,0,1] neg_hi:[0,0,1]
	v_pk_add_f32 v[10:11], v[8:9], v[10:11] neg_lo:[0,1] neg_hi:[0,1]
	v_pk_fma_f32 v[4:5], v[4:5], 2.0, v[18:19] op_sel_hi:[1,0,1] neg_lo:[0,0,1] neg_hi:[0,0,1]
	v_pk_fma_f32 v[6:7], v[6:7], 2.0, v[20:21] op_sel_hi:[1,0,1] neg_lo:[0,0,1] neg_hi:[0,0,1]
	ds_write2_b64 v43, v[16:17], v[18:19] offset0:122 offset1:185
	v_pk_fma_f32 v[8:9], v[8:9], 2.0, v[10:11] op_sel_hi:[1,0,1] neg_lo:[0,0,1] neg_hi:[0,0,1]
	ds_write2_b64 v42, v[0:1], v[2:3] offset1:63
	ds_write2_b64 v42, v[4:5], v[6:7] offset0:126 offset1:189
	ds_write2_b64 v48, v[20:21], v[10:11] offset0:120 offset1:183
	;; [unrolled: 1-line block ×3, first 2 shown]
	s_waitcnt lgkmcnt(0)
	; wave barrier
	s_waitcnt lgkmcnt(0)
	s_and_saveexec_b64 s[2:3], s[0:1]
	s_cbranch_execz .LBB0_33
; %bb.32:
	v_mul_lo_u32 v0, s11, v26
	v_mul_lo_u32 v1, s10, v27
	v_mad_u64_u32 v[4:5], s[0:1], s10, v26, 0
	v_lshl_add_u32 v10, v28, 3, 0
	v_add3_u32 v5, v5, v1, v0
	ds_read2_b64 v[0:3], v10 offset1:63
	v_lshl_add_u64 v[4:5], v[4:5], 3, s[6:7]
	v_mov_b32_e32 v29, 0
	v_lshl_add_u64 v[8:9], v[24:25], 3, v[4:5]
	v_lshl_add_u64 v[4:5], v[28:29], 3, v[8:9]
	s_waitcnt lgkmcnt(0)
	global_store_dwordx2 v[4:5], v[0:1], off
	ds_read2_b64 v[4:7], v10 offset0:126 offset1:189
	v_add_u32_e32 v0, 63, v28
	v_mov_b32_e32 v1, v29
	v_lshl_add_u64 v[0:1], v[0:1], 3, v[8:9]
	global_store_dwordx2 v[0:1], v[2:3], off
	v_add_u32_e32 v0, 0x7e, v28
	v_mov_b32_e32 v1, v29
	v_lshl_add_u64 v[0:1], v[0:1], 3, v[8:9]
	s_waitcnt lgkmcnt(0)
	global_store_dwordx2 v[0:1], v[4:5], off
	v_add_u32_e32 v0, 0xbd, v28
	v_mov_b32_e32 v1, v29
	v_lshl_add_u64 v[4:5], v[0:1], 3, v[8:9]
	v_add_u32_e32 v0, 0x400, v10
	ds_read2_b64 v[0:3], v0 offset0:124 offset1:187
	global_store_dwordx2 v[4:5], v[6:7], off
	v_add_u32_e32 v4, 0xfc, v28
	v_mov_b32_e32 v5, v29
	v_lshl_add_u64 v[4:5], v[4:5], 3, v[8:9]
	s_waitcnt lgkmcnt(0)
	global_store_dwordx2 v[4:5], v[0:1], off
	v_add_u32_e32 v4, 0x800, v10
	ds_read2_b64 v[4:7], v4 offset0:122 offset1:185
	v_add_u32_e32 v0, 0x13b, v28
	v_mov_b32_e32 v1, v29
	v_lshl_add_u64 v[0:1], v[0:1], 3, v[8:9]
	global_store_dwordx2 v[0:1], v[2:3], off
	v_add_u32_e32 v0, 0x17a, v28
	v_mov_b32_e32 v1, v29
	v_lshl_add_u64 v[0:1], v[0:1], 3, v[8:9]
	s_waitcnt lgkmcnt(0)
	global_store_dwordx2 v[0:1], v[4:5], off
	v_add_u32_e32 v0, 0x1b9, v28
	v_mov_b32_e32 v1, v29
	v_lshl_add_u64 v[4:5], v[0:1], 3, v[8:9]
	v_add_u32_e32 v0, 0xc00, v10
	ds_read2_b64 v[0:3], v0 offset0:120 offset1:183
	global_store_dwordx2 v[4:5], v[6:7], off
	v_add_u32_e32 v4, 0x1f8, v28
	v_mov_b32_e32 v5, v29
	v_lshl_add_u64 v[4:5], v[4:5], 3, v[8:9]
	v_add_u32_e32 v28, 0x237, v28
	s_waitcnt lgkmcnt(0)
	global_store_dwordx2 v[4:5], v[0:1], off
	v_lshl_add_u64 v[0:1], v[28:29], 3, v[8:9]
	global_store_dwordx2 v[0:1], v[2:3], off
.LBB0_33:
	s_endpgm
	.section	.rodata,"a",@progbits
	.p2align	6, 0x0
	.amdhsa_kernel fft_rtc_fwd_len630_factors_3_3_5_7_2_wgs_63_tpt_63_halfLds_sp_op_CI_CI_unitstride_sbrr_C2R_dirReg
		.amdhsa_group_segment_fixed_size 0
		.amdhsa_private_segment_fixed_size 0
		.amdhsa_kernarg_size 104
		.amdhsa_user_sgpr_count 2
		.amdhsa_user_sgpr_dispatch_ptr 0
		.amdhsa_user_sgpr_queue_ptr 0
		.amdhsa_user_sgpr_kernarg_segment_ptr 1
		.amdhsa_user_sgpr_dispatch_id 0
		.amdhsa_user_sgpr_kernarg_preload_length 0
		.amdhsa_user_sgpr_kernarg_preload_offset 0
		.amdhsa_user_sgpr_private_segment_size 0
		.amdhsa_uses_dynamic_stack 0
		.amdhsa_enable_private_segment 0
		.amdhsa_system_sgpr_workgroup_id_x 1
		.amdhsa_system_sgpr_workgroup_id_y 0
		.amdhsa_system_sgpr_workgroup_id_z 0
		.amdhsa_system_sgpr_workgroup_info 0
		.amdhsa_system_vgpr_workitem_id 0
		.amdhsa_next_free_vgpr 75
		.amdhsa_next_free_sgpr 28
		.amdhsa_accum_offset 76
		.amdhsa_reserve_vcc 1
		.amdhsa_float_round_mode_32 0
		.amdhsa_float_round_mode_16_64 0
		.amdhsa_float_denorm_mode_32 3
		.amdhsa_float_denorm_mode_16_64 3
		.amdhsa_dx10_clamp 1
		.amdhsa_ieee_mode 1
		.amdhsa_fp16_overflow 0
		.amdhsa_tg_split 0
		.amdhsa_exception_fp_ieee_invalid_op 0
		.amdhsa_exception_fp_denorm_src 0
		.amdhsa_exception_fp_ieee_div_zero 0
		.amdhsa_exception_fp_ieee_overflow 0
		.amdhsa_exception_fp_ieee_underflow 0
		.amdhsa_exception_fp_ieee_inexact 0
		.amdhsa_exception_int_div_zero 0
	.end_amdhsa_kernel
	.text
.Lfunc_end0:
	.size	fft_rtc_fwd_len630_factors_3_3_5_7_2_wgs_63_tpt_63_halfLds_sp_op_CI_CI_unitstride_sbrr_C2R_dirReg, .Lfunc_end0-fft_rtc_fwd_len630_factors_3_3_5_7_2_wgs_63_tpt_63_halfLds_sp_op_CI_CI_unitstride_sbrr_C2R_dirReg
                                        ; -- End function
	.section	.AMDGPU.csdata,"",@progbits
; Kernel info:
; codeLenInByte = 7984
; NumSgprs: 34
; NumVgprs: 75
; NumAgprs: 0
; TotalNumVgprs: 75
; ScratchSize: 0
; MemoryBound: 0
; FloatMode: 240
; IeeeMode: 1
; LDSByteSize: 0 bytes/workgroup (compile time only)
; SGPRBlocks: 4
; VGPRBlocks: 9
; NumSGPRsForWavesPerEU: 34
; NumVGPRsForWavesPerEU: 75
; AccumOffset: 76
; Occupancy: 6
; WaveLimiterHint : 1
; COMPUTE_PGM_RSRC2:SCRATCH_EN: 0
; COMPUTE_PGM_RSRC2:USER_SGPR: 2
; COMPUTE_PGM_RSRC2:TRAP_HANDLER: 0
; COMPUTE_PGM_RSRC2:TGID_X_EN: 1
; COMPUTE_PGM_RSRC2:TGID_Y_EN: 0
; COMPUTE_PGM_RSRC2:TGID_Z_EN: 0
; COMPUTE_PGM_RSRC2:TIDIG_COMP_CNT: 0
; COMPUTE_PGM_RSRC3_GFX90A:ACCUM_OFFSET: 18
; COMPUTE_PGM_RSRC3_GFX90A:TG_SPLIT: 0
	.text
	.p2alignl 6, 3212836864
	.fill 256, 4, 3212836864
	.type	__hip_cuid_75b88b9579af6d3e,@object ; @__hip_cuid_75b88b9579af6d3e
	.section	.bss,"aw",@nobits
	.globl	__hip_cuid_75b88b9579af6d3e
__hip_cuid_75b88b9579af6d3e:
	.byte	0                               ; 0x0
	.size	__hip_cuid_75b88b9579af6d3e, 1

	.ident	"AMD clang version 19.0.0git (https://github.com/RadeonOpenCompute/llvm-project roc-6.4.0 25133 c7fe45cf4b819c5991fe208aaa96edf142730f1d)"
	.section	".note.GNU-stack","",@progbits
	.addrsig
	.addrsig_sym __hip_cuid_75b88b9579af6d3e
	.amdgpu_metadata
---
amdhsa.kernels:
  - .agpr_count:     0
    .args:
      - .actual_access:  read_only
        .address_space:  global
        .offset:         0
        .size:           8
        .value_kind:     global_buffer
      - .offset:         8
        .size:           8
        .value_kind:     by_value
      - .actual_access:  read_only
        .address_space:  global
        .offset:         16
        .size:           8
        .value_kind:     global_buffer
      - .actual_access:  read_only
        .address_space:  global
        .offset:         24
        .size:           8
        .value_kind:     global_buffer
      - .actual_access:  read_only
        .address_space:  global
        .offset:         32
        .size:           8
        .value_kind:     global_buffer
      - .offset:         40
        .size:           8
        .value_kind:     by_value
      - .actual_access:  read_only
        .address_space:  global
        .offset:         48
        .size:           8
        .value_kind:     global_buffer
      - .actual_access:  read_only
        .address_space:  global
        .offset:         56
        .size:           8
        .value_kind:     global_buffer
      - .offset:         64
        .size:           4
        .value_kind:     by_value
      - .actual_access:  read_only
        .address_space:  global
        .offset:         72
        .size:           8
        .value_kind:     global_buffer
      - .actual_access:  read_only
        .address_space:  global
        .offset:         80
        .size:           8
        .value_kind:     global_buffer
      - .actual_access:  read_only
        .address_space:  global
        .offset:         88
        .size:           8
        .value_kind:     global_buffer
      - .actual_access:  write_only
        .address_space:  global
        .offset:         96
        .size:           8
        .value_kind:     global_buffer
    .group_segment_fixed_size: 0
    .kernarg_segment_align: 8
    .kernarg_segment_size: 104
    .language:       OpenCL C
    .language_version:
      - 2
      - 0
    .max_flat_workgroup_size: 63
    .name:           fft_rtc_fwd_len630_factors_3_3_5_7_2_wgs_63_tpt_63_halfLds_sp_op_CI_CI_unitstride_sbrr_C2R_dirReg
    .private_segment_fixed_size: 0
    .sgpr_count:     34
    .sgpr_spill_count: 0
    .symbol:         fft_rtc_fwd_len630_factors_3_3_5_7_2_wgs_63_tpt_63_halfLds_sp_op_CI_CI_unitstride_sbrr_C2R_dirReg.kd
    .uniform_work_group_size: 1
    .uses_dynamic_stack: false
    .vgpr_count:     75
    .vgpr_spill_count: 0
    .wavefront_size: 64
amdhsa.target:   amdgcn-amd-amdhsa--gfx950
amdhsa.version:
  - 1
  - 2
...

	.end_amdgpu_metadata
